;; amdgpu-corpus repo=ROCm/rocFFT kind=compiled arch=gfx1201 opt=O3
	.text
	.amdgcn_target "amdgcn-amd-amdhsa--gfx1201"
	.amdhsa_code_object_version 6
	.protected	fft_rtc_fwd_len1944_factors_3_3_3_3_8_3_wgs_243_tpt_243_halfLds_sp_op_CI_CI_unitstride_sbrr_R2C_dirReg ; -- Begin function fft_rtc_fwd_len1944_factors_3_3_3_3_8_3_wgs_243_tpt_243_halfLds_sp_op_CI_CI_unitstride_sbrr_R2C_dirReg
	.globl	fft_rtc_fwd_len1944_factors_3_3_3_3_8_3_wgs_243_tpt_243_halfLds_sp_op_CI_CI_unitstride_sbrr_R2C_dirReg
	.p2align	8
	.type	fft_rtc_fwd_len1944_factors_3_3_3_3_8_3_wgs_243_tpt_243_halfLds_sp_op_CI_CI_unitstride_sbrr_R2C_dirReg,@function
fft_rtc_fwd_len1944_factors_3_3_3_3_8_3_wgs_243_tpt_243_halfLds_sp_op_CI_CI_unitstride_sbrr_R2C_dirReg: ; @fft_rtc_fwd_len1944_factors_3_3_3_3_8_3_wgs_243_tpt_243_halfLds_sp_op_CI_CI_unitstride_sbrr_R2C_dirReg
; %bb.0:
	s_clause 0x2
	s_load_b128 s[8:11], s[0:1], 0x0
	s_load_b128 s[4:7], s[0:1], 0x58
	;; [unrolled: 1-line block ×3, first 2 shown]
	v_mul_u32_u24_e32 v1, 0x10e, v0
	v_mov_b32_e32 v3, 0
	s_delay_alu instid0(VALU_DEP_2) | instskip(NEXT) | instid1(VALU_DEP_1)
	v_lshrrev_b32_e32 v1, 16, v1
	v_add_nc_u32_e32 v5, ttmp9, v1
	v_mov_b32_e32 v1, 0
	v_mov_b32_e32 v2, 0
	;; [unrolled: 1-line block ×3, first 2 shown]
	s_wait_kmcnt 0x0
	v_cmp_lt_u64_e64 s2, s[10:11], 2
	s_delay_alu instid0(VALU_DEP_1)
	s_and_b32 vcc_lo, exec_lo, s2
	s_cbranch_vccnz .LBB0_8
; %bb.1:
	s_load_b64 s[2:3], s[0:1], 0x10
	v_mov_b32_e32 v1, 0
	v_mov_b32_e32 v2, 0
	s_add_nc_u64 s[16:17], s[14:15], 8
	s_add_nc_u64 s[18:19], s[12:13], 8
	s_mov_b64 s[20:21], 1
	s_delay_alu instid0(VALU_DEP_1)
	v_dual_mov_b32 v11, v2 :: v_dual_mov_b32 v10, v1
	s_wait_kmcnt 0x0
	s_add_nc_u64 s[22:23], s[2:3], 8
	s_mov_b32 s3, 0
.LBB0_2:                                ; =>This Inner Loop Header: Depth=1
	s_load_b64 s[24:25], s[22:23], 0x0
                                        ; implicit-def: $vgpr14_vgpr15
	s_mov_b32 s2, exec_lo
	s_wait_kmcnt 0x0
	v_or_b32_e32 v4, s25, v6
	s_delay_alu instid0(VALU_DEP_1)
	v_cmpx_ne_u64_e32 0, v[3:4]
	s_wait_alu 0xfffe
	s_xor_b32 s26, exec_lo, s2
	s_cbranch_execz .LBB0_4
; %bb.3:                                ;   in Loop: Header=BB0_2 Depth=1
	s_cvt_f32_u32 s2, s24
	s_cvt_f32_u32 s27, s25
	s_sub_nc_u64 s[30:31], 0, s[24:25]
	s_wait_alu 0xfffe
	s_delay_alu instid0(SALU_CYCLE_1) | instskip(SKIP_1) | instid1(SALU_CYCLE_2)
	s_fmamk_f32 s2, s27, 0x4f800000, s2
	s_wait_alu 0xfffe
	v_s_rcp_f32 s2, s2
	s_delay_alu instid0(TRANS32_DEP_1) | instskip(SKIP_1) | instid1(SALU_CYCLE_2)
	s_mul_f32 s2, s2, 0x5f7ffffc
	s_wait_alu 0xfffe
	s_mul_f32 s27, s2, 0x2f800000
	s_wait_alu 0xfffe
	s_delay_alu instid0(SALU_CYCLE_2) | instskip(SKIP_1) | instid1(SALU_CYCLE_2)
	s_trunc_f32 s27, s27
	s_wait_alu 0xfffe
	s_fmamk_f32 s2, s27, 0xcf800000, s2
	s_cvt_u32_f32 s29, s27
	s_wait_alu 0xfffe
	s_delay_alu instid0(SALU_CYCLE_1) | instskip(SKIP_1) | instid1(SALU_CYCLE_2)
	s_cvt_u32_f32 s28, s2
	s_wait_alu 0xfffe
	s_mul_u64 s[34:35], s[30:31], s[28:29]
	s_wait_alu 0xfffe
	s_mul_hi_u32 s37, s28, s35
	s_mul_i32 s36, s28, s35
	s_mul_hi_u32 s2, s28, s34
	s_mul_i32 s33, s29, s34
	s_wait_alu 0xfffe
	s_add_nc_u64 s[36:37], s[2:3], s[36:37]
	s_mul_hi_u32 s27, s29, s34
	s_mul_hi_u32 s38, s29, s35
	s_add_co_u32 s2, s36, s33
	s_wait_alu 0xfffe
	s_add_co_ci_u32 s2, s37, s27
	s_mul_i32 s34, s29, s35
	s_add_co_ci_u32 s35, s38, 0
	s_wait_alu 0xfffe
	s_add_nc_u64 s[34:35], s[2:3], s[34:35]
	s_wait_alu 0xfffe
	v_add_co_u32 v4, s2, s28, s34
	s_delay_alu instid0(VALU_DEP_1) | instskip(SKIP_1) | instid1(VALU_DEP_1)
	s_cmp_lg_u32 s2, 0
	s_add_co_ci_u32 s29, s29, s35
	v_readfirstlane_b32 s28, v4
	s_wait_alu 0xfffe
	s_delay_alu instid0(VALU_DEP_1)
	s_mul_u64 s[30:31], s[30:31], s[28:29]
	s_wait_alu 0xfffe
	s_mul_hi_u32 s35, s28, s31
	s_mul_i32 s34, s28, s31
	s_mul_hi_u32 s2, s28, s30
	s_mul_i32 s33, s29, s30
	s_wait_alu 0xfffe
	s_add_nc_u64 s[34:35], s[2:3], s[34:35]
	s_mul_hi_u32 s27, s29, s30
	s_mul_hi_u32 s28, s29, s31
	s_wait_alu 0xfffe
	s_add_co_u32 s2, s34, s33
	s_add_co_ci_u32 s2, s35, s27
	s_mul_i32 s30, s29, s31
	s_add_co_ci_u32 s31, s28, 0
	s_wait_alu 0xfffe
	s_add_nc_u64 s[30:31], s[2:3], s[30:31]
	s_wait_alu 0xfffe
	v_add_co_u32 v4, s2, v4, s30
	s_delay_alu instid0(VALU_DEP_1) | instskip(SKIP_1) | instid1(VALU_DEP_1)
	s_cmp_lg_u32 s2, 0
	s_add_co_ci_u32 s2, s29, s31
	v_mul_hi_u32 v9, v5, v4
	s_wait_alu 0xfffe
	v_mad_co_u64_u32 v[7:8], null, v5, s2, 0
	v_mad_co_u64_u32 v[12:13], null, v6, v4, 0
	;; [unrolled: 1-line block ×3, first 2 shown]
	s_delay_alu instid0(VALU_DEP_3) | instskip(SKIP_1) | instid1(VALU_DEP_4)
	v_add_co_u32 v4, vcc_lo, v9, v7
	s_wait_alu 0xfffd
	v_add_co_ci_u32_e32 v7, vcc_lo, 0, v8, vcc_lo
	s_delay_alu instid0(VALU_DEP_2) | instskip(SKIP_1) | instid1(VALU_DEP_2)
	v_add_co_u32 v4, vcc_lo, v4, v12
	s_wait_alu 0xfffd
	v_add_co_ci_u32_e32 v4, vcc_lo, v7, v13, vcc_lo
	s_wait_alu 0xfffd
	v_add_co_ci_u32_e32 v7, vcc_lo, 0, v15, vcc_lo
	s_delay_alu instid0(VALU_DEP_2) | instskip(SKIP_1) | instid1(VALU_DEP_2)
	v_add_co_u32 v4, vcc_lo, v4, v14
	s_wait_alu 0xfffd
	v_add_co_ci_u32_e32 v9, vcc_lo, 0, v7, vcc_lo
	s_delay_alu instid0(VALU_DEP_2) | instskip(SKIP_1) | instid1(VALU_DEP_3)
	v_mul_lo_u32 v12, s25, v4
	v_mad_co_u64_u32 v[7:8], null, s24, v4, 0
	v_mul_lo_u32 v13, s24, v9
	s_delay_alu instid0(VALU_DEP_2) | instskip(NEXT) | instid1(VALU_DEP_2)
	v_sub_co_u32 v7, vcc_lo, v5, v7
	v_add3_u32 v8, v8, v13, v12
	s_delay_alu instid0(VALU_DEP_1) | instskip(SKIP_1) | instid1(VALU_DEP_1)
	v_sub_nc_u32_e32 v12, v6, v8
	s_wait_alu 0xfffd
	v_subrev_co_ci_u32_e64 v12, s2, s25, v12, vcc_lo
	v_add_co_u32 v13, s2, v4, 2
	s_wait_alu 0xf1ff
	v_add_co_ci_u32_e64 v14, s2, 0, v9, s2
	v_sub_co_u32 v15, s2, v7, s24
	v_sub_co_ci_u32_e32 v8, vcc_lo, v6, v8, vcc_lo
	s_wait_alu 0xf1ff
	v_subrev_co_ci_u32_e64 v12, s2, 0, v12, s2
	s_delay_alu instid0(VALU_DEP_3) | instskip(NEXT) | instid1(VALU_DEP_3)
	v_cmp_le_u32_e32 vcc_lo, s24, v15
	v_cmp_eq_u32_e64 s2, s25, v8
	s_wait_alu 0xfffd
	v_cndmask_b32_e64 v15, 0, -1, vcc_lo
	v_cmp_le_u32_e32 vcc_lo, s25, v12
	s_wait_alu 0xfffd
	v_cndmask_b32_e64 v16, 0, -1, vcc_lo
	v_cmp_le_u32_e32 vcc_lo, s24, v7
	;; [unrolled: 3-line block ×3, first 2 shown]
	s_wait_alu 0xfffd
	v_cndmask_b32_e64 v17, 0, -1, vcc_lo
	v_cmp_eq_u32_e32 vcc_lo, s25, v12
	s_wait_alu 0xf1ff
	s_delay_alu instid0(VALU_DEP_2)
	v_cndmask_b32_e64 v7, v17, v7, s2
	s_wait_alu 0xfffd
	v_cndmask_b32_e32 v12, v16, v15, vcc_lo
	v_add_co_u32 v15, vcc_lo, v4, 1
	s_wait_alu 0xfffd
	v_add_co_ci_u32_e32 v16, vcc_lo, 0, v9, vcc_lo
	s_delay_alu instid0(VALU_DEP_3) | instskip(SKIP_1) | instid1(VALU_DEP_2)
	v_cmp_ne_u32_e32 vcc_lo, 0, v12
	s_wait_alu 0xfffd
	v_cndmask_b32_e32 v8, v16, v14, vcc_lo
	v_cndmask_b32_e32 v12, v15, v13, vcc_lo
	v_cmp_ne_u32_e32 vcc_lo, 0, v7
	s_wait_alu 0xfffd
	s_delay_alu instid0(VALU_DEP_3) | instskip(NEXT) | instid1(VALU_DEP_3)
	v_cndmask_b32_e32 v15, v9, v8, vcc_lo
	v_cndmask_b32_e32 v14, v4, v12, vcc_lo
.LBB0_4:                                ;   in Loop: Header=BB0_2 Depth=1
	s_wait_alu 0xfffe
	s_and_not1_saveexec_b32 s2, s26
	s_cbranch_execz .LBB0_6
; %bb.5:                                ;   in Loop: Header=BB0_2 Depth=1
	v_cvt_f32_u32_e32 v4, s24
	s_sub_co_i32 s26, 0, s24
	v_mov_b32_e32 v15, v3
	s_delay_alu instid0(VALU_DEP_2) | instskip(NEXT) | instid1(TRANS32_DEP_1)
	v_rcp_iflag_f32_e32 v4, v4
	v_mul_f32_e32 v4, 0x4f7ffffe, v4
	s_delay_alu instid0(VALU_DEP_1) | instskip(SKIP_1) | instid1(VALU_DEP_1)
	v_cvt_u32_f32_e32 v4, v4
	s_wait_alu 0xfffe
	v_mul_lo_u32 v7, s26, v4
	s_delay_alu instid0(VALU_DEP_1) | instskip(NEXT) | instid1(VALU_DEP_1)
	v_mul_hi_u32 v7, v4, v7
	v_add_nc_u32_e32 v4, v4, v7
	s_delay_alu instid0(VALU_DEP_1) | instskip(NEXT) | instid1(VALU_DEP_1)
	v_mul_hi_u32 v4, v5, v4
	v_mul_lo_u32 v7, v4, s24
	v_add_nc_u32_e32 v8, 1, v4
	s_delay_alu instid0(VALU_DEP_2) | instskip(NEXT) | instid1(VALU_DEP_1)
	v_sub_nc_u32_e32 v7, v5, v7
	v_subrev_nc_u32_e32 v9, s24, v7
	v_cmp_le_u32_e32 vcc_lo, s24, v7
	s_wait_alu 0xfffd
	s_delay_alu instid0(VALU_DEP_2) | instskip(NEXT) | instid1(VALU_DEP_1)
	v_dual_cndmask_b32 v7, v7, v9 :: v_dual_cndmask_b32 v4, v4, v8
	v_cmp_le_u32_e32 vcc_lo, s24, v7
	s_delay_alu instid0(VALU_DEP_2) | instskip(SKIP_1) | instid1(VALU_DEP_1)
	v_add_nc_u32_e32 v8, 1, v4
	s_wait_alu 0xfffd
	v_cndmask_b32_e32 v14, v4, v8, vcc_lo
.LBB0_6:                                ;   in Loop: Header=BB0_2 Depth=1
	s_wait_alu 0xfffe
	s_or_b32 exec_lo, exec_lo, s2
	v_mul_lo_u32 v4, v15, s24
	s_delay_alu instid0(VALU_DEP_2)
	v_mul_lo_u32 v9, v14, s25
	s_load_b64 s[26:27], s[18:19], 0x0
	v_mad_co_u64_u32 v[7:8], null, v14, s24, 0
	s_load_b64 s[24:25], s[16:17], 0x0
	s_add_nc_u64 s[20:21], s[20:21], 1
	s_add_nc_u64 s[16:17], s[16:17], 8
	s_wait_alu 0xfffe
	v_cmp_ge_u64_e64 s2, s[20:21], s[10:11]
	s_add_nc_u64 s[18:19], s[18:19], 8
	s_add_nc_u64 s[22:23], s[22:23], 8
	v_add3_u32 v4, v8, v9, v4
	v_sub_co_u32 v5, vcc_lo, v5, v7
	s_wait_alu 0xfffd
	s_delay_alu instid0(VALU_DEP_2) | instskip(SKIP_2) | instid1(VALU_DEP_1)
	v_sub_co_ci_u32_e32 v4, vcc_lo, v6, v4, vcc_lo
	s_and_b32 vcc_lo, exec_lo, s2
	s_wait_kmcnt 0x0
	v_mul_lo_u32 v6, s26, v4
	v_mul_lo_u32 v7, s27, v5
	v_mad_co_u64_u32 v[1:2], null, s26, v5, v[1:2]
	v_mul_lo_u32 v4, s24, v4
	v_mul_lo_u32 v8, s25, v5
	v_mad_co_u64_u32 v[10:11], null, s24, v5, v[10:11]
	s_delay_alu instid0(VALU_DEP_4) | instskip(NEXT) | instid1(VALU_DEP_2)
	v_add3_u32 v2, v7, v2, v6
	v_add3_u32 v11, v8, v11, v4
	s_wait_alu 0xfffe
	s_cbranch_vccnz .LBB0_9
; %bb.7:                                ;   in Loop: Header=BB0_2 Depth=1
	v_dual_mov_b32 v5, v14 :: v_dual_mov_b32 v6, v15
	s_branch .LBB0_2
.LBB0_8:
	v_dual_mov_b32 v11, v2 :: v_dual_mov_b32 v10, v1
	v_dual_mov_b32 v15, v6 :: v_dual_mov_b32 v14, v5
.LBB0_9:
	s_load_b64 s[0:1], s[0:1], 0x28
	v_mul_hi_u32 v3, 0x10db20b, v0
	s_lshl_b64 s[10:11], s[10:11], 3
                                        ; implicit-def: $vgpr12
                                        ; implicit-def: $vgpr16
                                        ; implicit-def: $vgpr18
	s_wait_kmcnt 0x0
	v_cmp_gt_u64_e32 vcc_lo, s[0:1], v[14:15]
	v_cmp_le_u64_e64 s0, s[0:1], v[14:15]
	s_delay_alu instid0(VALU_DEP_1)
	s_and_saveexec_b32 s1, s0
	s_wait_alu 0xfffe
	s_xor_b32 s0, exec_lo, s1
; %bb.10:
	v_mul_u32_u24_e32 v1, 0xf3, v3
                                        ; implicit-def: $vgpr3
	s_delay_alu instid0(VALU_DEP_1) | instskip(NEXT) | instid1(VALU_DEP_1)
	v_sub_nc_u32_e32 v12, v0, v1
                                        ; implicit-def: $vgpr0
                                        ; implicit-def: $vgpr1_vgpr2
	v_add_nc_u32_e32 v16, 0xf3, v12
	v_add_nc_u32_e32 v18, 0x1e6, v12
; %bb.11:
	s_wait_alu 0xfffe
	s_or_saveexec_b32 s1, s0
	s_add_nc_u64 s[2:3], s[14:15], s[10:11]
	s_wait_alu 0xfffe
	s_xor_b32 exec_lo, exec_lo, s1
	s_cbranch_execz .LBB0_13
; %bb.12:
	s_add_nc_u64 s[10:11], s[12:13], s[10:11]
	v_lshlrev_b64_e32 v[1:2], 3, v[1:2]
	s_load_b64 s[10:11], s[10:11], 0x0
	s_wait_kmcnt 0x0
	v_mul_lo_u32 v6, s11, v14
	v_mul_lo_u32 v7, s10, v15
	v_mad_co_u64_u32 v[4:5], null, s10, v14, 0
	s_delay_alu instid0(VALU_DEP_1) | instskip(SKIP_1) | instid1(VALU_DEP_2)
	v_add3_u32 v5, v5, v7, v6
	v_mul_u32_u24_e32 v6, 0xf3, v3
	v_lshlrev_b64_e32 v[3:4], 3, v[4:5]
	s_delay_alu instid0(VALU_DEP_2) | instskip(NEXT) | instid1(VALU_DEP_1)
	v_sub_nc_u32_e32 v12, v0, v6
	v_lshlrev_b32_e32 v13, 3, v12
	s_delay_alu instid0(VALU_DEP_3) | instskip(SKIP_1) | instid1(VALU_DEP_4)
	v_add_co_u32 v0, s0, s4, v3
	s_wait_alu 0xf1ff
	v_add_co_ci_u32_e64 v3, s0, s5, v4, s0
	v_add_nc_u32_e32 v16, 0xf3, v12
	s_delay_alu instid0(VALU_DEP_3) | instskip(SKIP_1) | instid1(VALU_DEP_3)
	v_add_co_u32 v0, s0, v0, v1
	s_wait_alu 0xf1ff
	v_add_co_ci_u32_e64 v1, s0, v3, v2, s0
	v_add_nc_u32_e32 v18, 0x1e6, v12
	s_delay_alu instid0(VALU_DEP_3) | instskip(SKIP_1) | instid1(VALU_DEP_3)
	v_add_co_u32 v0, s0, v0, v13
	s_wait_alu 0xf1ff
	v_add_co_ci_u32_e64 v1, s0, 0, v1, s0
	s_clause 0x7
	global_load_b64 v[2:3], v[0:1], off
	global_load_b64 v[4:5], v[0:1], off offset:1944
	global_load_b64 v[6:7], v[0:1], off offset:3888
	global_load_b64 v[8:9], v[0:1], off offset:5832
	global_load_b64 v[19:20], v[0:1], off offset:7776
	global_load_b64 v[21:22], v[0:1], off offset:9720
	global_load_b64 v[23:24], v[0:1], off offset:11664
	global_load_b64 v[0:1], v[0:1], off offset:13608
	v_add_nc_u32_e32 v13, 0, v13
	s_delay_alu instid0(VALU_DEP_1)
	v_add_nc_u32_e32 v17, 0xf00, v13
	v_add_nc_u32_e32 v25, 0x1e00, v13
	;; [unrolled: 1-line block ×3, first 2 shown]
	s_wait_loadcnt 0x6
	ds_store_2addr_b64 v13, v[2:3], v[4:5] offset1:243
	s_wait_loadcnt 0x4
	ds_store_2addr_b64 v17, v[6:7], v[8:9] offset0:6 offset1:249
	s_wait_loadcnt 0x2
	ds_store_2addr_b64 v25, v[19:20], v[21:22] offset0:12 offset1:255
	;; [unrolled: 2-line block ×3, first 2 shown]
.LBB0_13:
	s_or_b32 exec_lo, exec_lo, s1
	v_lshl_add_u32 v29, v12, 3, 0
	s_load_b64 s[2:3], s[2:3], 0x0
	global_wb scope:SCOPE_SE
	s_wait_dscnt 0x0
	s_wait_kmcnt 0x0
	s_barrier_signal -1
	s_barrier_wait -1
	global_inv scope:SCOPE_SE
	ds_load_2addr_b64 v[21:24], v29 offset1:243
	v_add_nc_u32_e32 v0, 0xe00, v29
	v_add_nc_u32_e32 v6, 0x2880, v29
	;; [unrolled: 1-line block ×3, first 2 shown]
	ds_load_2addr_b64 v[0:3], v0 offset0:38 offset1:200
	ds_load_2addr_b64 v[25:28], v6 offset1:243
	ds_load_2addr_b64 v[30:33], v4 offset0:11 offset1:254
	ds_load_b64 v[4:5], v29 offset:14256
	v_cmp_gt_u32_e64 s0, 0xa2, v12
	global_wb scope:SCOPE_SE
	s_wait_dscnt 0x0
	s_barrier_signal -1
	s_barrier_wait -1
	global_inv scope:SCOPE_SE
	v_add_f32_e32 v13, v22, v3
	v_dual_add_f32 v7, v21, v2 :: v_dual_add_f32 v8, v2, v25
	v_add_f32_e32 v17, v3, v26
	v_sub_f32_e32 v9, v3, v26
	v_dual_sub_f32 v19, v2, v25 :: v_dual_add_f32 v20, v23, v30
	v_dual_add_f32 v34, v30, v27 :: v_dual_sub_f32 v35, v31, v28
	v_dual_add_f32 v36, v24, v31 :: v_dual_add_f32 v31, v31, v28
	v_dual_add_f32 v2, v7, v25 :: v_dual_add_f32 v3, v13, v26
	v_fma_f32 v7, -0.5, v8, v21
	v_dual_sub_f32 v37, v30, v27 :: v_dual_add_f32 v38, v32, v4
	v_fma_f32 v8, -0.5, v17, v22
	s_delay_alu instid0(VALU_DEP_3)
	v_dual_add_f32 v25, v20, v27 :: v_dual_fmamk_f32 v30, v9, 0x3f5db3d7, v7
	v_fma_f32 v23, -0.5, v34, v23
	v_dual_add_f32 v26, v36, v28 :: v_dual_fmac_f32 v7, 0xbf5db3d7, v9
	v_dual_fmac_f32 v24, -0.5, v31 :: v_dual_add_f32 v9, v33, v5
	v_dual_fmamk_f32 v31, v19, 0xbf5db3d7, v8 :: v_dual_add_f32 v20, v1, v33
	v_dual_fmac_f32 v8, 0x3f5db3d7, v19 :: v_dual_add_f32 v13, v0, v32
	v_dual_fmamk_f32 v34, v35, 0x3f5db3d7, v23 :: v_dual_sub_f32 v17, v33, v5
	v_fma_f32 v0, -0.5, v38, v0
	v_fmac_f32_e32 v23, 0xbf5db3d7, v35
	v_dual_fmamk_f32 v35, v37, 0xbf5db3d7, v24 :: v_dual_add_f32 v20, v20, v5
	v_fmac_f32_e32 v24, 0x3f5db3d7, v37
	v_fmac_f32_e32 v1, -0.5, v9
	v_sub_f32_e32 v9, v32, v4
	v_add_f32_e32 v19, v13, v4
	v_fmamk_f32 v21, v17, 0x3f5db3d7, v0
	v_fmac_f32_e32 v0, 0xbf5db3d7, v17
	v_lshl_add_u32 v4, v12, 4, v29
	v_fmamk_f32 v22, v9, 0xbf5db3d7, v1
	v_fmac_f32_e32 v1, 0x3f5db3d7, v9
	v_mad_i32_i24 v28, v16, 24, 0
	ds_store_2addr_b64 v4, v[2:3], v[30:31] offset1:1
	ds_store_b64 v4, v[7:8] offset:16
	ds_store_2addr_b64 v28, v[25:26], v[34:35] offset1:1
	ds_store_b64 v28, v[23:24] offset:16
	s_and_saveexec_b32 s1, s0
	s_cbranch_execz .LBB0_15
; %bb.14:
	v_mad_i32_i24 v2, v18, 24, 0
	ds_store_2addr_b64 v2, v[19:20], v[21:22] offset1:1
	ds_store_b64 v2, v[0:1] offset:16
.LBB0_15:
	s_wait_alu 0xfffe
	s_or_b32 exec_lo, exec_lo, s1
	v_lshlrev_b32_e32 v33, 4, v16
	v_add_nc_u32_e32 v2, 0x1400, v29
	global_wb scope:SCOPE_SE
	s_wait_dscnt 0x0
	s_barrier_signal -1
	s_barrier_wait -1
	v_sub_nc_u32_e32 v7, v28, v33
	global_inv scope:SCOPE_SE
	v_lshl_add_u32 v30, v18, 3, 0
	ds_load_2addr_b64 v[2:5], v2 offset0:8 offset1:251
	ds_load_b64 v[25:26], v29
	ds_load_b64 v[23:24], v7
	s_wait_dscnt 0x1
	ds_load_b32 v26, v29 offset:4
	ds_load_2addr_b64 v[6:9], v6 offset1:243
	s_and_saveexec_b32 s1, s0
	s_cbranch_execz .LBB0_17
; %bb.16:
	ds_load_b64 v[21:22], v29 offset:9072
	ds_load_b64 v[19:20], v30
	ds_load_b64 v[0:1], v29 offset:14256
.LBB0_17:
	s_wait_alu 0xfffe
	s_or_b32 exec_lo, exec_lo, s1
	v_and_b32_e32 v13, 0xff, v12
	v_and_b32_e32 v27, 0xffff, v16
	;; [unrolled: 1-line block ×3, first 2 shown]
	v_sub_nc_u32_e32 v33, 0, v33
	s_delay_alu instid0(VALU_DEP_4) | instskip(NEXT) | instid1(VALU_DEP_4)
	v_mul_lo_u16 v31, 0xab, v13
	v_mul_u32_u24_e32 v32, 0xaaab, v27
	s_delay_alu instid0(VALU_DEP_2) | instskip(NEXT) | instid1(VALU_DEP_2)
	v_lshrrev_b16 v46, 9, v31
	v_lshrrev_b32_e32 v47, 17, v32
	v_mul_u32_u24_e32 v31, 0xaaab, v17
	s_delay_alu instid0(VALU_DEP_3) | instskip(NEXT) | instid1(VALU_DEP_3)
	v_mul_lo_u16 v32, v46, 3
	v_mul_lo_u16 v34, v47, 3
	s_delay_alu instid0(VALU_DEP_3) | instskip(SKIP_1) | instid1(VALU_DEP_4)
	v_lshrrev_b32_e32 v31, 17, v31
	v_mul_u32_u24_e32 v47, 0x48, v47
	v_sub_nc_u16 v32, v12, v32
	s_delay_alu instid0(VALU_DEP_4) | instskip(NEXT) | instid1(VALU_DEP_4)
	v_sub_nc_u16 v34, v16, v34
	v_mul_lo_u16 v35, v31, 3
	s_delay_alu instid0(VALU_DEP_3) | instskip(NEXT) | instid1(VALU_DEP_3)
	v_and_b32_e32 v48, 0xff, v32
	v_and_b32_e32 v49, 0xffff, v34
	s_delay_alu instid0(VALU_DEP_3) | instskip(NEXT) | instid1(VALU_DEP_3)
	v_sub_nc_u16 v32, v18, v35
	v_lshlrev_b32_e32 v34, 4, v48
	s_delay_alu instid0(VALU_DEP_3)
	v_lshlrev_b32_e32 v38, 4, v49
	v_lshlrev_b32_e32 v49, 3, v49
	global_load_b128 v[34:37], v34, s[8:9]
	v_and_b32_e32 v32, 0xffff, v32
	v_add3_u32 v47, 0, v47, v49
	s_wait_loadcnt_dscnt 0x0
	v_mul_f32_e32 v49, v37, v7
	s_delay_alu instid0(VALU_DEP_3)
	v_dual_mul_f32 v37, v37, v6 :: v_dual_lshlrev_b32 v42, 4, v32
	s_clause 0x1
	global_load_b128 v[38:41], v38, s[8:9]
	global_load_b128 v[42:45], v42, s[8:9]
	v_and_b32_e32 v46, 0xffff, v46
	v_lshlrev_b32_e32 v48, 3, v48
	global_wb scope:SCOPE_SE
	s_wait_loadcnt 0x0
	s_barrier_signal -1
	s_barrier_wait -1
	global_inv scope:SCOPE_SE
	v_mul_f32_e32 v51, v41, v9
	v_mul_f32_e32 v41, v41, v8
	v_mul_u32_u24_e32 v46, 0x48, v46
	v_mul_f32_e32 v50, v39, v5
	v_dual_mul_f32 v39, v39, v4 :: v_dual_mul_f32 v52, v22, v43
	v_mul_f32_e32 v43, v21, v43
	s_delay_alu instid0(VALU_DEP_4)
	v_add3_u32 v46, 0, v46, v48
	v_mul_f32_e32 v48, v35, v3
	v_mul_f32_e32 v35, v35, v2
	v_fma_f32 v4, v38, v4, -v50
	v_fmac_f32_e32 v39, v38, v5
	v_fma_f32 v5, v40, v8, -v51
	v_fma_f32 v2, v34, v2, -v48
	v_fmac_f32_e32 v35, v34, v3
	v_fma_f32 v3, v36, v6, -v49
	v_mul_f32_e32 v53, v1, v45
	v_mul_f32_e32 v45, v0, v45
	v_fma_f32 v6, v21, v42, -v52
	v_fmac_f32_e32 v41, v40, v9
	v_fmac_f32_e32 v37, v36, v7
	v_dual_fmac_f32 v43, v22, v42 :: v_dual_add_f32 v36, v24, v39
	v_sub_f32_e32 v22, v2, v3
	v_fma_f32 v7, v0, v44, -v53
	s_delay_alu instid0(VALU_DEP_3) | instskip(SKIP_2) | instid1(VALU_DEP_4)
	v_dual_fmac_f32 v45, v1, v44 :: v_dual_add_f32 v44, v20, v43
	v_add_f32_e32 v0, v2, v25
	v_add_f32_e32 v34, v4, v5
	;; [unrolled: 1-line block ×4, first 2 shown]
	s_delay_alu instid0(VALU_DEP_4)
	v_dual_add_f32 v9, v35, v37 :: v_dual_add_f32 v0, v0, v3
	v_dual_add_f32 v1, v2, v3 :: v_dual_sub_f32 v42, v43, v45
	v_dual_sub_f32 v21, v35, v37 :: v_dual_sub_f32 v48, v6, v7
	v_add_f32_e32 v8, v26, v35
	v_add_f32_e32 v2, v23, v4
	v_dual_sub_f32 v35, v39, v41 :: v_dual_fmac_f32 v24, -0.5, v38
	v_add_f32_e32 v43, v43, v45
	v_dual_sub_f32 v39, v4, v5 :: v_dual_add_f32 v4, v19, v6
	v_dual_fmac_f32 v26, -0.5, v9 :: v_dual_fmac_f32 v19, -0.5, v40
	v_fmac_f32_e32 v25, -0.5, v1
	v_fma_f32 v23, -0.5, v34, v23
	v_add_f32_e32 v2, v2, v5
	s_delay_alu instid0(VALU_DEP_4)
	v_fmamk_f32 v5, v22, 0xbf5db3d7, v26
	v_dual_fmac_f32 v26, 0x3f5db3d7, v22 :: v_dual_add_f32 v1, v8, v37
	v_add_f32_e32 v8, v4, v7
	v_fmamk_f32 v4, v21, 0x3f5db3d7, v25
	v_dual_fmac_f32 v20, -0.5, v43 :: v_dual_add_f32 v9, v44, v45
	v_fmac_f32_e32 v25, 0xbf5db3d7, v21
	v_fmamk_f32 v21, v42, 0x3f5db3d7, v19
	s_delay_alu instid0(VALU_DEP_3)
	v_dual_fmac_f32 v19, 0xbf5db3d7, v42 :: v_dual_fmamk_f32 v22, v48, 0xbf5db3d7, v20
	v_dual_fmac_f32 v20, 0x3f5db3d7, v48 :: v_dual_add_f32 v3, v36, v41
	v_fmamk_f32 v6, v35, 0x3f5db3d7, v23
	v_fmamk_f32 v7, v39, 0xbf5db3d7, v24
	v_fmac_f32_e32 v23, 0xbf5db3d7, v35
	v_fmac_f32_e32 v24, 0x3f5db3d7, v39
	ds_store_2addr_b64 v46, v[0:1], v[4:5] offset1:3
	ds_store_b64 v46, v[25:26] offset:48
	ds_store_2addr_b64 v47, v[2:3], v[6:7] offset1:3
	ds_store_b64 v47, v[23:24] offset:48
	s_and_saveexec_b32 s1, s0
	s_cbranch_execz .LBB0_19
; %bb.18:
	v_mul_lo_u16 v0, v31, 9
	v_lshlrev_b32_e32 v1, 3, v32
	s_delay_alu instid0(VALU_DEP_2) | instskip(NEXT) | instid1(VALU_DEP_1)
	v_and_b32_e32 v0, 0xffff, v0
	v_lshlrev_b32_e32 v0, 3, v0
	s_delay_alu instid0(VALU_DEP_1)
	v_add3_u32 v0, 0, v1, v0
	ds_store_2addr_b64 v0, v[8:9], v[21:22] offset1:3
	ds_store_b64 v0, v[19:20] offset:48
.LBB0_19:
	s_wait_alu 0xfffe
	s_or_b32 exec_lo, exec_lo, s1
	v_add_nc_u32_e32 v0, 0x1400, v29
	v_add_nc_u32_e32 v1, 0x2880, v29
	;; [unrolled: 1-line block ×3, first 2 shown]
	global_wb scope:SCOPE_SE
	s_wait_dscnt 0x0
	s_barrier_signal -1
	s_barrier_wait -1
	global_inv scope:SCOPE_SE
	ds_load_2addr_b64 v[4:7], v0 offset0:8 offset1:251
	ds_load_2addr_b64 v[0:3], v1 offset1:243
	ds_load_b64 v[25:26], v29
	ds_load_b64 v[23:24], v31
	s_and_saveexec_b32 s1, s0
	s_cbranch_execz .LBB0_21
; %bb.20:
	ds_load_b64 v[21:22], v29 offset:9072
	ds_load_b64 v[8:9], v30
	ds_load_b64 v[19:20], v29 offset:14256
.LBB0_21:
	s_wait_alu 0xfffe
	s_or_b32 exec_lo, exec_lo, s1
	v_mul_lo_u16 v28, v13, 57
	v_mul_u32_u24_e32 v32, 0xe38f, v27
	s_delay_alu instid0(VALU_DEP_2) | instskip(SKIP_1) | instid1(VALU_DEP_3)
	v_lshrrev_b16 v45, 9, v28
	v_mul_u32_u24_e32 v28, 0xe38f, v17
	v_lshrrev_b32_e32 v46, 19, v32
	s_delay_alu instid0(VALU_DEP_3) | instskip(NEXT) | instid1(VALU_DEP_3)
	v_mul_lo_u16 v32, v45, 9
	v_lshrrev_b32_e32 v28, 19, v28
	s_delay_alu instid0(VALU_DEP_3) | instskip(SKIP_1) | instid1(VALU_DEP_4)
	v_mul_lo_u16 v33, v46, 9
	v_mul_u32_u24_e32 v46, 0xd8, v46
	v_sub_nc_u16 v32, v12, v32
	s_delay_alu instid0(VALU_DEP_4) | instskip(NEXT) | instid1(VALU_DEP_4)
	v_mul_lo_u16 v34, v28, 9
	v_sub_nc_u16 v33, v16, v33
	s_delay_alu instid0(VALU_DEP_3) | instskip(NEXT) | instid1(VALU_DEP_3)
	v_and_b32_e32 v47, 0xff, v32
	v_sub_nc_u16 v32, v18, v34
	s_delay_alu instid0(VALU_DEP_3) | instskip(NEXT) | instid1(VALU_DEP_3)
	v_and_b32_e32 v48, 0xffff, v33
	v_lshlrev_b32_e32 v33, 4, v47
	s_delay_alu instid0(VALU_DEP_2) | instskip(SKIP_3) | instid1(VALU_DEP_2)
	v_lshlrev_b32_e32 v37, 4, v48
	global_load_b128 v[33:36], v33, s[8:9] offset:48
	v_and_b32_e32 v32, 0xffff, v32
	v_and_b32_e32 v45, 0xffff, v45
	v_lshlrev_b32_e32 v41, 4, v32
	s_clause 0x1
	global_load_b128 v[37:40], v37, s[8:9] offset:48
	global_load_b128 v[41:44], v41, s[8:9] offset:48
	global_wb scope:SCOPE_SE
	s_wait_loadcnt_dscnt 0x0
	s_barrier_signal -1
	s_barrier_wait -1
	global_inv scope:SCOPE_SE
	v_mul_f32_e32 v50, v40, v3
	v_dual_mul_f32 v49, v38, v7 :: v_dual_lshlrev_b32 v48, 3, v48
	v_mul_f32_e32 v51, v22, v42
	v_mul_f32_e32 v38, v38, v6
	;; [unrolled: 1-line block ×3, first 2 shown]
	v_fma_f32 v2, v39, v2, -v50
	v_add3_u32 v46, 0, v46, v48
	v_dual_mul_f32 v48, v36, v1 :: v_dual_lshlrev_b32 v47, 3, v47
	v_mul_f32_e32 v36, v36, v0
	v_mul_u32_u24_e32 v45, 0xd8, v45
	v_fmac_f32_e32 v38, v37, v7
	s_delay_alu instid0(VALU_DEP_4) | instskip(NEXT) | instid1(VALU_DEP_3)
	v_fma_f32 v0, v35, v0, -v48
	v_add3_u32 v45, 0, v45, v47
	v_mul_f32_e32 v47, v34, v5
	v_mul_f32_e32 v34, v34, v4
	s_delay_alu instid0(VALU_DEP_2) | instskip(SKIP_1) | instid1(VALU_DEP_2)
	v_fma_f32 v4, v33, v4, -v47
	v_mul_f32_e32 v42, v21, v42
	v_dual_fmac_f32 v34, v33, v5 :: v_dual_add_f32 v7, v4, v0
	s_delay_alu instid0(VALU_DEP_2)
	v_fmac_f32_e32 v42, v22, v41
	v_fmac_f32_e32 v40, v39, v3
	;; [unrolled: 1-line block ×3, first 2 shown]
	v_fma_f32 v1, v37, v6, -v49
	v_add_f32_e32 v35, v24, v38
	v_mul_f32_e32 v52, v20, v44
	v_mul_f32_e32 v44, v19, v44
	v_fma_f32 v3, v21, v41, -v51
	v_add_f32_e32 v33, v1, v2
	s_delay_alu instid0(VALU_DEP_4) | instskip(NEXT) | instid1(VALU_DEP_4)
	v_fma_f32 v5, v19, v43, -v52
	v_dual_fmac_f32 v44, v20, v43 :: v_dual_add_f32 v19, v34, v26
	s_delay_alu instid0(VALU_DEP_4) | instskip(SKIP_1) | instid1(VALU_DEP_4)
	v_add_f32_e32 v39, v8, v3
	v_dual_add_f32 v6, v4, v25 :: v_dual_add_f32 v47, v9, v42
	v_add_f32_e32 v41, v3, v5
	s_delay_alu instid0(VALU_DEP_4)
	v_sub_f32_e32 v43, v42, v44
	v_add_f32_e32 v37, v38, v40
	v_sub_f32_e32 v21, v34, v36
	v_add_f32_e32 v20, v34, v36
	v_fma_f32 v25, -0.5, v7, v25
	v_sub_f32_e32 v34, v38, v40
	v_add_f32_e32 v42, v42, v44
	v_sub_f32_e32 v22, v4, v0
	v_sub_f32_e32 v38, v1, v2
	v_fmac_f32_e32 v8, -0.5, v41
	s_delay_alu instid0(VALU_DEP_4)
	v_dual_add_f32 v0, v6, v0 :: v_dual_fmac_f32 v9, -0.5, v42
	v_add_f32_e32 v4, v23, v1
	v_dual_add_f32 v1, v19, v36 :: v_dual_fmac_f32 v24, -0.5, v37
	v_sub_f32_e32 v48, v3, v5
	v_dual_add_f32 v19, v39, v5 :: v_dual_fmac_f32 v26, -0.5, v20
	v_fma_f32 v23, -0.5, v33, v23
	s_delay_alu instid0(VALU_DEP_4) | instskip(SKIP_1) | instid1(VALU_DEP_4)
	v_dual_fmamk_f32 v7, v38, 0xbf5db3d7, v24 :: v_dual_add_f32 v20, v47, v44
	v_add_f32_e32 v3, v35, v40
	v_dual_fmamk_f32 v5, v22, 0xbf5db3d7, v26 :: v_dual_add_f32 v2, v4, v2
	v_fmamk_f32 v4, v21, 0x3f5db3d7, v25
	v_fmac_f32_e32 v25, 0xbf5db3d7, v21
	v_fmac_f32_e32 v26, 0x3f5db3d7, v22
	v_fmamk_f32 v21, v43, 0x3f5db3d7, v8
	v_fmac_f32_e32 v8, 0xbf5db3d7, v43
	v_fmamk_f32 v22, v48, 0xbf5db3d7, v9
	;; [unrolled: 2-line block ×3, first 2 shown]
	v_fmac_f32_e32 v23, 0xbf5db3d7, v34
	v_fmac_f32_e32 v24, 0x3f5db3d7, v38
	ds_store_2addr_b64 v45, v[0:1], v[4:5] offset1:9
	ds_store_b64 v45, v[25:26] offset:144
	ds_store_2addr_b64 v46, v[2:3], v[6:7] offset1:9
	ds_store_b64 v46, v[23:24] offset:144
	s_and_saveexec_b32 s1, s0
	s_cbranch_execz .LBB0_23
; %bb.22:
	v_mul_lo_u16 v0, v28, 27
	v_lshlrev_b32_e32 v1, 3, v32
	s_delay_alu instid0(VALU_DEP_2) | instskip(NEXT) | instid1(VALU_DEP_1)
	v_and_b32_e32 v0, 0xffff, v0
	v_lshlrev_b32_e32 v0, 3, v0
	s_delay_alu instid0(VALU_DEP_1)
	v_add3_u32 v0, 0, v1, v0
	ds_store_2addr_b64 v0, v[19:20], v[21:22] offset1:9
	ds_store_b64 v0, v[8:9] offset:144
.LBB0_23:
	s_wait_alu 0xfffe
	s_or_b32 exec_lo, exec_lo, s1
	v_add_nc_u32_e32 v0, 0x1400, v29
	v_add_nc_u32_e32 v1, 0x2880, v29
	global_wb scope:SCOPE_SE
	s_wait_dscnt 0x0
	s_barrier_signal -1
	s_barrier_wait -1
	global_inv scope:SCOPE_SE
	ds_load_2addr_b64 v[4:7], v0 offset0:8 offset1:251
	ds_load_2addr_b64 v[0:3], v1 offset1:243
	ds_load_b64 v[25:26], v29
	ds_load_b64 v[23:24], v31
	s_and_saveexec_b32 s1, s0
	s_cbranch_execz .LBB0_25
; %bb.24:
	ds_load_b64 v[21:22], v29 offset:9072
	ds_load_b64 v[19:20], v30
	ds_load_b64 v[8:9], v29 offset:14256
.LBB0_25:
	s_wait_alu 0xfffe
	s_or_b32 exec_lo, exec_lo, s1
	v_mul_lo_u16 v28, v13, 19
	v_mul_u32_u24_e32 v27, 0x2f69, v27
	v_mul_u32_u24_e32 v17, 0x2f69, v17
	s_delay_alu instid0(VALU_DEP_3) | instskip(NEXT) | instid1(VALU_DEP_3)
	v_lshrrev_b16 v28, 9, v28
	v_lshrrev_b32_e32 v27, 16, v27
	s_delay_alu instid0(VALU_DEP_3) | instskip(NEXT) | instid1(VALU_DEP_3)
	v_lshrrev_b32_e32 v17, 16, v17
	v_mul_lo_u16 v32, v28, 27
	s_delay_alu instid0(VALU_DEP_3) | instskip(NEXT) | instid1(VALU_DEP_3)
	v_sub_nc_u16 v33, v16, v27
	v_sub_nc_u16 v34, v18, v17
	v_and_b32_e32 v28, 0xffff, v28
	s_delay_alu instid0(VALU_DEP_4) | instskip(NEXT) | instid1(VALU_DEP_4)
	v_sub_nc_u16 v32, v12, v32
	v_lshrrev_b16 v33, 1, v33
	s_delay_alu instid0(VALU_DEP_4) | instskip(NEXT) | instid1(VALU_DEP_4)
	v_lshrrev_b16 v34, 1, v34
	v_mul_u32_u24_e32 v28, 0x288, v28
	s_delay_alu instid0(VALU_DEP_4) | instskip(NEXT) | instid1(VALU_DEP_4)
	v_and_b32_e32 v44, 0xff, v32
	v_add_nc_u16 v27, v33, v27
	s_delay_alu instid0(VALU_DEP_4) | instskip(NEXT) | instid1(VALU_DEP_3)
	v_add_nc_u16 v17, v34, v17
	v_lshlrev_b32_e32 v32, 4, v44
	s_delay_alu instid0(VALU_DEP_3) | instskip(NEXT) | instid1(VALU_DEP_3)
	v_lshrrev_b16 v45, 4, v27
	v_lshrrev_b16 v17, 4, v17
	global_load_b128 v[32:35], v32, s[8:9] offset:192
	v_mul_lo_u16 v27, v45, 27
	v_mul_lo_u16 v36, v17, 27
	v_and_b32_e32 v45, 0xffff, v45
	s_delay_alu instid0(VALU_DEP_3) | instskip(NEXT) | instid1(VALU_DEP_3)
	v_sub_nc_u16 v27, v16, v27
	v_sub_nc_u16 v36, v18, v36
	s_delay_alu instid0(VALU_DEP_2) | instskip(NEXT) | instid1(VALU_DEP_2)
	v_and_b32_e32 v46, 0xffff, v27
	v_and_b32_e32 v27, 0xffff, v36
	s_wait_loadcnt_dscnt 0x2
	s_delay_alu instid0(VALU_DEP_2) | instskip(SKIP_1) | instid1(VALU_DEP_2)
	v_dual_mul_f32 v47, v35, v1 :: v_dual_lshlrev_b32 v36, 4, v46
	v_mul_f32_e32 v35, v35, v0
	v_fma_f32 v0, v34, v0, -v47
	s_delay_alu instid0(VALU_DEP_2) | instskip(NEXT) | instid1(VALU_DEP_1)
	v_dual_fmac_f32 v35, v34, v1 :: v_dual_lshlrev_b32 v44, 3, v44
	v_add3_u32 v28, 0, v28, v44
	v_mul_u32_u24_e32 v44, 0x288, v45
	v_dual_mul_f32 v46, v33, v5 :: v_dual_lshlrev_b32 v45, 3, v46
	v_dual_mul_f32 v33, v33, v4 :: v_dual_lshlrev_b32 v40, 4, v27
	s_delay_alu instid0(VALU_DEP_2) | instskip(NEXT) | instid1(VALU_DEP_2)
	v_fma_f32 v4, v32, v4, -v46
	v_fmac_f32_e32 v33, v32, v5
	s_clause 0x1
	global_load_b128 v[36:39], v36, s[8:9] offset:192
	global_load_b128 v[40:43], v40, s[8:9] offset:192
	global_wb scope:SCOPE_SE
	s_wait_loadcnt_dscnt 0x0
	s_barrier_signal -1
	v_dual_add_f32 v1, v4, v25 :: v_dual_add_f32 v34, v33, v26
	v_dual_add_f32 v46, v33, v35 :: v_dual_add_f32 v5, v4, v0
	v_add3_u32 v44, 0, v44, v45
	v_dual_sub_f32 v45, v33, v35 :: v_dual_sub_f32 v4, v4, v0
	s_delay_alu instid0(VALU_DEP_4) | instskip(NEXT) | instid1(VALU_DEP_4)
	v_dual_add_f32 v33, v34, v35 :: v_dual_add_f32 v32, v1, v0
	v_fmac_f32_e32 v26, -0.5, v46
	v_fma_f32 v25, -0.5, v5, v25
	s_barrier_wait -1
	global_inv scope:SCOPE_SE
	v_mul_f32_e32 v5, v37, v7
	v_dual_mul_f32 v37, v37, v6 :: v_dual_mul_f32 v46, v39, v3
	v_mul_f32_e32 v39, v39, v2
	v_dual_mul_f32 v47, v22, v41 :: v_dual_mul_f32 v0, v8, v43
	s_delay_alu instid0(VALU_DEP_2) | instskip(NEXT) | instid1(VALU_DEP_2)
	v_fmac_f32_e32 v39, v38, v3
	v_fma_f32 v3, v21, v40, -v47
	v_fmac_f32_e32 v37, v36, v7
	v_fmamk_f32 v35, v4, 0xbf5db3d7, v26
	v_fmac_f32_e32 v26, 0x3f5db3d7, v4
	v_fma_f32 v4, v36, v6, -v5
	v_mul_f32_e32 v1, v21, v41
	v_mul_f32_e32 v41, v9, v43
	v_fma_f32 v6, v38, v2, -v46
	v_fmamk_f32 v34, v45, 0x3f5db3d7, v25
	v_dual_fmac_f32 v25, 0xbf5db3d7, v45 :: v_dual_fmac_f32 v0, v9, v42
	s_delay_alu instid0(VALU_DEP_4)
	v_fma_f32 v2, v8, v42, -v41
	v_add_f32_e32 v8, v23, v4
	v_fmac_f32_e32 v1, v22, v40
	v_add_f32_e32 v9, v4, v6
	v_sub_f32_e32 v40, v4, v6
	v_add_f32_e32 v4, v3, v2
	v_add_f32_e32 v36, v37, v39
	v_sub_f32_e32 v38, v37, v39
	v_add_f32_e32 v22, v24, v37
	v_fma_f32 v23, -0.5, v9, v23
	v_add_f32_e32 v37, v1, v0
	v_sub_f32_e32 v7, v1, v0
	v_dual_sub_f32 v5, v3, v2 :: v_dual_fmac_f32 v24, -0.5, v36
	v_add_f32_e32 v21, v8, v6
	v_fma_f32 v4, -0.5, v4, v19
	v_fmamk_f32 v36, v38, 0x3f5db3d7, v23
	v_fma_f32 v6, -0.5, v37, v20
	v_dual_add_f32 v22, v22, v39 :: v_dual_fmac_f32 v23, 0xbf5db3d7, v38
	s_delay_alu instid0(VALU_DEP_4) | instskip(SKIP_1) | instid1(VALU_DEP_4)
	v_fmamk_f32 v8, v7, 0xbf5db3d7, v4
	v_fmamk_f32 v37, v40, 0xbf5db3d7, v24
	;; [unrolled: 1-line block ×3, first 2 shown]
	v_fmac_f32_e32 v24, 0x3f5db3d7, v40
	ds_store_2addr_b64 v28, v[32:33], v[34:35] offset1:27
	ds_store_b64 v28, v[25:26] offset:432
	ds_store_2addr_b64 v44, v[21:22], v[36:37] offset1:27
	ds_store_b64 v44, v[23:24] offset:432
	s_and_saveexec_b32 s1, s0
	s_cbranch_execz .LBB0_27
; %bb.26:
	v_mul_lo_u16 v17, 0x51, v17
	v_add_f32_e32 v1, v20, v1
	v_add_f32_e32 v3, v19, v3
	v_mul_f32_e32 v7, 0x3f5db3d7, v7
	v_mul_f32_e32 v5, 0x3f5db3d7, v5
	v_and_b32_e32 v17, 0xffff, v17
	v_lshlrev_b32_e32 v19, 3, v27
	v_dual_add_f32 v1, v1, v0 :: v_dual_add_f32 v0, v3, v2
	s_delay_alu instid0(VALU_DEP_3) | instskip(SKIP_1) | instid1(VALU_DEP_2)
	v_dual_add_f32 v2, v7, v4 :: v_dual_lshlrev_b32 v17, 3, v17
	v_sub_f32_e32 v3, v6, v5
	v_add3_u32 v4, 0, v19, v17
	ds_store_2addr_b64 v4, v[0:1], v[2:3] offset1:27
	ds_store_b64 v4, v[8:9] offset:432
.LBB0_27:
	s_wait_alu 0xfffe
	s_or_b32 exec_lo, exec_lo, s1
	v_mul_lo_u16 v0, 0xcb, v13
	global_wb scope:SCOPE_SE
	s_wait_dscnt 0x0
	s_barrier_signal -1
	s_barrier_wait -1
	global_inv scope:SCOPE_SE
	v_lshrrev_b16 v13, 14, v0
	s_delay_alu instid0(VALU_DEP_1) | instskip(NEXT) | instid1(VALU_DEP_1)
	v_mul_lo_u16 v0, 0x51, v13
	v_sub_nc_u16 v0, v12, v0
	s_delay_alu instid0(VALU_DEP_1) | instskip(NEXT) | instid1(VALU_DEP_1)
	v_and_b32_e32 v17, 0xff, v0
	v_mul_u32_u24_e32 v0, 7, v17
	s_delay_alu instid0(VALU_DEP_1)
	v_lshlrev_b32_e32 v23, 3, v0
	s_clause 0x3
	global_load_b128 v[0:3], v23, s[8:9] offset:624
	global_load_b128 v[4:7], v23, s[8:9] offset:640
	;; [unrolled: 1-line block ×3, first 2 shown]
	global_load_b64 v[27:28], v23, s[8:9] offset:672
	ds_load_b64 v[32:33], v31
	ds_load_b64 v[34:35], v30
	ds_load_b64 v[36:37], v29 offset:9720
	v_add_nc_u32_e32 v23, 0x1680, v29
	v_add_nc_u32_e32 v44, 0x1400, v29
	;; [unrolled: 1-line block ×3, first 2 shown]
	s_wait_loadcnt_dscnt 0x301
	v_mul_f32_e32 v48, v3, v35
	v_mul_f32_e32 v3, v3, v34
	;; [unrolled: 1-line block ×4, first 2 shown]
	s_delay_alu instid0(VALU_DEP_3)
	v_fmac_f32_e32 v3, v2, v35
	s_wait_loadcnt_dscnt 0x100
	v_mul_f32_e32 v51, v20, v37
	v_mul_f32_e32 v20, v20, v36
	ds_load_2addr_b64 v[23:26], v23 offset0:9 offset1:252
	ds_load_b64 v[38:39], v29
	ds_load_2addr_b32 v[40:41], v40 offset0:100 offset1:101
	ds_load_b64 v[42:43], v29 offset:13608
	v_and_b32_e32 v13, 0xffff, v13
	v_lshlrev_b32_e32 v17, 3, v17
	v_fma_f32 v32, v0, v32, -v47
	global_wb scope:SCOPE_SE
	s_wait_loadcnt_dscnt 0x0
	s_barrier_signal -1
	s_barrier_wait -1
	global_inv scope:SCOPE_SE
	v_fmac_f32_e32 v20, v19, v37
	v_mul_f32_e32 v52, v41, v22
	v_mul_f32_e32 v22, v22, v40
	v_mul_u32_u24_e32 v13, 0x1440, v13
	v_mul_f32_e32 v50, v7, v26
	v_mul_f32_e32 v7, v7, v25
	;; [unrolled: 1-line block ×4, first 2 shown]
	v_add3_u32 v13, 0, v13, v17
	v_dual_mul_f32 v53, v43, v28 :: v_dual_fmac_f32 v22, v41, v21
	v_fmac_f32_e32 v7, v6, v26
	s_delay_alu instid0(VALU_DEP_3) | instskip(SKIP_1) | instid1(VALU_DEP_3)
	v_dual_fmac_f32 v5, v4, v24 :: v_dual_add_nc_u32 v46, 0xc00, v13
	v_dual_mul_f32 v28, v42, v28 :: v_dual_add_nc_u32 v17, 0x2880, v29
	v_sub_f32_e32 v7, v39, v7
	v_fmac_f32_e32 v1, v0, v33
	v_fma_f32 v0, v2, v34, -v48
	v_fma_f32 v2, v4, v23, -v49
	;; [unrolled: 1-line block ×3, first 2 shown]
	v_sub_f32_e32 v22, v3, v22
	v_fma_f32 v6, v19, v36, -v51
	v_fma_f32 v19, v21, v40, -v52
	v_fma_f32 v21, v42, v27, -v53
	v_dual_sub_f32 v4, v38, v4 :: v_dual_add_nc_u32 v45, 0x800, v13
	v_fmac_f32_e32 v28, v43, v27
	s_delay_alu instid0(VALU_DEP_3) | instskip(NEXT) | instid1(VALU_DEP_3)
	v_dual_sub_f32 v6, v32, v6 :: v_dual_sub_f32 v21, v2, v21
	v_sub_f32_e32 v27, v4, v22
	v_fma_f32 v24, v38, 2.0, -v4
	s_delay_alu instid0(VALU_DEP_3) | instskip(NEXT) | instid1(VALU_DEP_4)
	v_fma_f32 v26, v32, 2.0, -v6
	v_fma_f32 v2, v2, 2.0, -v21
	s_delay_alu instid0(VALU_DEP_4) | instskip(NEXT) | instid1(VALU_DEP_2)
	v_fma_f32 v35, v4, 2.0, -v27
	v_dual_sub_f32 v23, v5, v28 :: v_dual_sub_f32 v2, v26, v2
	v_sub_f32_e32 v19, v0, v19
	v_fma_f32 v25, v39, 2.0, -v7
	s_delay_alu instid0(VALU_DEP_2) | instskip(SKIP_2) | instid1(VALU_DEP_3)
	v_add_f32_e32 v28, v7, v19
	v_sub_f32_e32 v20, v1, v20
	v_fma_f32 v3, v3, 2.0, -v22
	v_fma_f32 v36, v7, 2.0, -v28
	s_delay_alu instid0(VALU_DEP_3) | instskip(SKIP_1) | instid1(VALU_DEP_4)
	v_fma_f32 v1, v1, 2.0, -v20
	v_add_f32_e32 v32, v20, v21
	v_sub_f32_e32 v34, v25, v3
	v_fma_f32 v5, v5, 2.0, -v23
	s_delay_alu instid0(VALU_DEP_3) | instskip(NEXT) | instid1(VALU_DEP_3)
	v_fmamk_f32 v22, v32, 0x3f3504f3, v28
	v_fma_f32 v25, v25, 2.0, -v34
	s_delay_alu instid0(VALU_DEP_3) | instskip(SKIP_3) | instid1(VALU_DEP_4)
	v_sub_f32_e32 v3, v1, v5
	v_fma_f32 v5, v20, 2.0, -v32
	v_add_f32_e32 v20, v34, v2
	v_fma_f32 v0, v0, 2.0, -v19
	v_fma_f32 v7, v1, 2.0, -v3
	s_delay_alu instid0(VALU_DEP_4) | instskip(NEXT) | instid1(VALU_DEP_3)
	v_fmamk_f32 v1, v5, 0xbf3504f3, v36
	v_sub_f32_e32 v33, v24, v0
	s_delay_alu instid0(VALU_DEP_1) | instskip(SKIP_1) | instid1(VALU_DEP_1)
	v_fma_f32 v24, v24, 2.0, -v33
	v_sub_f32_e32 v23, v6, v23
	v_fma_f32 v4, v6, 2.0, -v23
	v_fma_f32 v6, v26, 2.0, -v2
	s_delay_alu instid0(VALU_DEP_2) | instskip(NEXT) | instid1(VALU_DEP_2)
	v_fmamk_f32 v0, v4, 0xbf3504f3, v35
	v_sub_f32_e32 v2, v24, v6
	v_dual_fmac_f32 v22, 0x3f3504f3, v23 :: v_dual_fmamk_f32 v21, v23, 0x3f3504f3, v27
	v_fmac_f32_e32 v1, 0x3f3504f3, v4
	s_delay_alu instid0(VALU_DEP_4) | instskip(SKIP_1) | instid1(VALU_DEP_4)
	v_dual_fmac_f32 v0, 0xbf3504f3, v5 :: v_dual_sub_f32 v19, v33, v3
	v_sub_f32_e32 v3, v25, v7
	v_fmac_f32_e32 v21, 0xbf3504f3, v32
	v_fma_f32 v5, v34, 2.0, -v20
	v_fma_f32 v7, v28, 2.0, -v22
	;; [unrolled: 1-line block ×8, first 2 shown]
	ds_store_2addr_b64 v46, v[19:20], v[21:22] offset0:102 offset1:183
	ds_store_2addr_b64 v13, v[4:5], v[6:7] offset0:162 offset1:243
	;; [unrolled: 1-line block ×3, first 2 shown]
	ds_store_2addr_b64 v13, v[23:24], v[25:26] offset1:81
	global_wb scope:SCOPE_SE
	s_wait_dscnt 0x0
	s_barrier_signal -1
	s_barrier_wait -1
	global_inv scope:SCOPE_SE
	ds_load_2addr_b64 v[4:7], v44 offset0:8 offset1:251
	ds_load_2addr_b64 v[0:3], v17 offset1:243
	ds_load_b64 v[25:26], v29
	ds_load_b64 v[23:24], v31
	s_and_saveexec_b32 s1, s0
	s_cbranch_execz .LBB0_29
; %bb.28:
	ds_load_b64 v[21:22], v29 offset:9072
	ds_load_b64 v[19:20], v30
	ds_load_b64 v[8:9], v29 offset:14256
.LBB0_29:
	s_wait_alu 0xfffe
	s_or_b32 exec_lo, exec_lo, s1
	v_dual_mov_b32 v28, 0 :: v_dual_lshlrev_b32 v27, 1, v12
	s_delay_alu instid0(VALU_DEP_1) | instskip(SKIP_1) | instid1(VALU_DEP_1)
	v_lshlrev_b64_e32 v[32:33], 3, v[27:28]
	v_lshlrev_b32_e32 v27, 1, v16
	v_lshlrev_b64_e32 v[36:37], 3, v[27:28]
	s_delay_alu instid0(VALU_DEP_3) | instskip(SKIP_1) | instid1(VALU_DEP_4)
	v_add_co_u32 v32, s1, s8, v32
	s_wait_alu 0xf1ff
	v_add_co_ci_u32_e64 v33, s1, s9, v33, s1
	s_delay_alu instid0(VALU_DEP_3)
	v_add_co_u32 v36, s1, s8, v36
	global_load_b128 v[32:35], v[32:33], off offset:5160
	s_wait_alu 0xf1ff
	v_add_co_ci_u32_e64 v37, s1, s9, v37, s1
	global_load_b128 v[36:39], v[36:37], off offset:5160
	global_wb scope:SCOPE_SE
	s_wait_loadcnt_dscnt 0x0
	s_barrier_signal -1
	s_barrier_wait -1
	global_inv scope:SCOPE_SE
	v_mul_f32_e32 v13, v33, v5
	v_mul_f32_e32 v17, v33, v4
	;; [unrolled: 1-line block ×3, first 2 shown]
	s_delay_alu instid0(VALU_DEP_3) | instskip(SKIP_1) | instid1(VALU_DEP_3)
	v_fma_f32 v4, v32, v4, -v13
	v_mul_f32_e32 v27, v35, v1
	v_fmac_f32_e32 v33, v34, v1
	v_mul_f32_e32 v13, v37, v6
	s_delay_alu instid0(VALU_DEP_4) | instskip(NEXT) | instid1(VALU_DEP_4)
	v_add_f32_e32 v1, v4, v25
	v_fma_f32 v0, v34, v0, -v27
	v_fmac_f32_e32 v17, v32, v5
	v_dual_mul_f32 v5, v37, v7 :: v_dual_mul_f32 v32, v39, v2
	s_delay_alu instid0(VALU_DEP_1) | instskip(SKIP_1) | instid1(VALU_DEP_3)
	v_fma_f32 v5, v36, v6, -v5
	v_mul_f32_e32 v27, v39, v3
	v_fmac_f32_e32 v32, v38, v3
	s_delay_alu instid0(VALU_DEP_2)
	v_fma_f32 v6, v38, v2, -v27
	v_add_f32_e32 v2, v4, v0
	v_sub_f32_e32 v4, v4, v0
	v_add_f32_e32 v0, v1, v0
	v_sub_f32_e32 v3, v17, v33
	v_dual_sub_f32 v34, v5, v6 :: v_dual_fmac_f32 v13, v36, v7
	v_add_f32_e32 v7, v17, v26
	v_add_f32_e32 v17, v17, v33
	v_fma_f32 v25, -0.5, v2, v25
	s_delay_alu instid0(VALU_DEP_4) | instskip(NEXT) | instid1(VALU_DEP_4)
	v_sub_f32_e32 v27, v13, v32
	v_add_f32_e32 v1, v7, v33
	s_delay_alu instid0(VALU_DEP_4)
	v_dual_fmac_f32 v26, -0.5, v17 :: v_dual_add_f32 v17, v5, v6
	v_add_f32_e32 v33, v24, v13
	v_add_f32_e32 v13, v13, v32
	;; [unrolled: 1-line block ×3, first 2 shown]
	v_fmamk_f32 v2, v3, 0x3f5db3d7, v25
	v_fma_f32 v23, -0.5, v17, v23
	s_delay_alu instid0(VALU_DEP_4)
	v_dual_fmac_f32 v25, 0xbf5db3d7, v3 :: v_dual_fmac_f32 v24, -0.5, v13
	v_fmamk_f32 v3, v4, 0xbf5db3d7, v26
	v_fmac_f32_e32 v26, 0x3f5db3d7, v4
	v_dual_add_f32 v4, v7, v6 :: v_dual_add_f32 v5, v33, v32
	v_fmamk_f32 v6, v27, 0x3f5db3d7, v23
	v_fmamk_f32 v7, v34, 0xbf5db3d7, v24
	v_fmac_f32_e32 v23, 0xbf5db3d7, v27
	v_fmac_f32_e32 v24, 0x3f5db3d7, v34
	ds_store_b64 v29, v[0:1]
	ds_store_b64 v29, v[2:3] offset:5184
	ds_store_b64 v29, v[25:26] offset:10368
	ds_store_b64 v31, v[4:5]
	ds_store_b64 v31, v[6:7] offset:5184
	ds_store_b64 v31, v[23:24] offset:10368
	s_and_saveexec_b32 s1, s0
	s_cbranch_execz .LBB0_31
; %bb.30:
	v_add_nc_u32_e32 v0, 0xffffff5e, v12
	s_delay_alu instid0(VALU_DEP_1) | instskip(NEXT) | instid1(VALU_DEP_1)
	v_cndmask_b32_e64 v0, v0, v18, s0
	v_lshlrev_b32_e32 v27, 1, v0
	s_delay_alu instid0(VALU_DEP_1) | instskip(NEXT) | instid1(VALU_DEP_1)
	v_lshlrev_b64_e32 v[0:1], 3, v[27:28]
	v_add_co_u32 v0, s0, s8, v0
	s_wait_alu 0xf1ff
	s_delay_alu instid0(VALU_DEP_2) | instskip(SKIP_3) | instid1(VALU_DEP_1)
	v_add_co_ci_u32_e64 v1, s0, s9, v1, s0
	global_load_b128 v[0:3], v[0:1], off offset:5160
	s_wait_loadcnt 0x0
	v_dual_mul_f32 v4, v8, v3 :: v_dual_mul_f32 v5, v21, v1
	v_dual_mul_f32 v1, v22, v1 :: v_dual_fmac_f32 v4, v9, v2
	s_delay_alu instid0(VALU_DEP_2) | instskip(NEXT) | instid1(VALU_DEP_2)
	v_fmac_f32_e32 v5, v22, v0
	v_fma_f32 v0, v21, v0, -v1
	v_mul_f32_e32 v3, v9, v3
	s_delay_alu instid0(VALU_DEP_2) | instskip(NEXT) | instid1(VALU_DEP_2)
	v_add_f32_e32 v7, v19, v0
	v_fma_f32 v2, v8, v2, -v3
	s_delay_alu instid0(VALU_DEP_1) | instskip(SKIP_1) | instid1(VALU_DEP_4)
	v_add_f32_e32 v6, v0, v2
	v_dual_sub_f32 v8, v0, v2 :: v_dual_add_f32 v1, v5, v4
	v_dual_add_f32 v0, v7, v2 :: v_dual_add_f32 v3, v20, v5
	v_sub_f32_e32 v5, v5, v4
	s_delay_alu instid0(VALU_DEP_3) | instskip(NEXT) | instid1(VALU_DEP_1)
	v_dual_fmac_f32 v19, -0.5, v6 :: v_dual_fmac_f32 v20, -0.5, v1
	v_dual_add_f32 v1, v3, v4 :: v_dual_fmamk_f32 v2, v5, 0xbf5db3d7, v19
	s_delay_alu instid0(VALU_DEP_2)
	v_fmamk_f32 v3, v8, 0x3f5db3d7, v20
	v_fmac_f32_e32 v20, 0xbf5db3d7, v8
	v_fmac_f32_e32 v19, 0x3f5db3d7, v5
	ds_store_b64 v29, v[0:1] offset:3888
	ds_store_b64 v29, v[19:20] offset:9072
	ds_store_b64 v29, v[2:3] offset:14256
.LBB0_31:
	s_wait_alu 0xfffe
	s_or_b32 exec_lo, exec_lo, s1
	global_wb scope:SCOPE_SE
	s_wait_dscnt 0x0
	s_barrier_signal -1
	s_barrier_wait -1
	global_inv scope:SCOPE_SE
	ds_load_b64 v[4:5], v29
	v_lshlrev_b32_e32 v0, 3, v12
	s_mov_b32 s1, exec_lo
                                        ; implicit-def: $vgpr7
                                        ; implicit-def: $vgpr8
                                        ; implicit-def: $vgpr2_vgpr3
	s_delay_alu instid0(VALU_DEP_1)
	v_sub_nc_u32_e32 v6, 0, v0
                                        ; implicit-def: $vgpr0
	v_cmpx_ne_u32_e32 0, v12
	s_wait_alu 0xfffe
	s_xor_b32 s1, exec_lo, s1
	s_cbranch_execz .LBB0_33
; %bb.32:
	ds_load_b64 v[2:3], v6 offset:15552
	s_wait_dscnt 0x0
	v_dual_mov_b32 v13, 0 :: v_dual_add_f32 v8, v3, v5
	s_delay_alu instid0(VALU_DEP_1) | instskip(SKIP_2) | instid1(VALU_DEP_2)
	v_lshlrev_b64_e32 v[0:1], 3, v[12:13]
	v_dual_sub_f32 v7, v4, v2 :: v_dual_add_f32 v2, v2, v4
	v_sub_f32_e32 v3, v5, v3
	v_mul_f32_e32 v5, 0.5, v7
	s_delay_alu instid0(VALU_DEP_4)
	v_add_co_u32 v0, s0, s8, v0
	s_wait_alu 0xf1ff
	v_add_co_ci_u32_e64 v1, s0, s9, v1, s0
	v_mul_f32_e32 v3, 0.5, v3
	global_load_b64 v[0:1], v[0:1], off offset:15528
	s_wait_loadcnt 0x0
	v_dual_mul_f32 v9, 0.5, v8 :: v_dual_mul_f32 v4, v1, v5
	s_delay_alu instid0(VALU_DEP_1) | instskip(SKIP_1) | instid1(VALU_DEP_3)
	v_fma_f32 v8, v9, v1, v3
	v_fma_f32 v1, v9, v1, -v3
	v_fma_f32 v7, 0.5, v2, v4
	v_fma_f32 v2, v2, 0.5, -v4
	s_delay_alu instid0(VALU_DEP_4) | instskip(NEXT) | instid1(VALU_DEP_4)
	v_fma_f32 v8, -v0, v5, v8
	v_fma_f32 v1, -v0, v5, v1
                                        ; implicit-def: $vgpr4_vgpr5
	s_delay_alu instid0(VALU_DEP_4) | instskip(NEXT) | instid1(VALU_DEP_4)
	v_fmac_f32_e32 v7, v0, v9
	v_fma_f32 v0, -v0, v9, v2
	v_dual_mov_b32 v2, v12 :: v_dual_mov_b32 v3, v13
.LBB0_33:
	s_wait_alu 0xfffe
	s_and_not1_saveexec_b32 s0, s1
	s_cbranch_execz .LBB0_35
; %bb.34:
	s_wait_dscnt 0x0
	v_dual_mov_b32 v8, 0 :: v_dual_add_f32 v7, v4, v5
	v_mov_b32_e32 v2, 0
	v_dual_sub_f32 v0, v4, v5 :: v_dual_mov_b32 v3, 0
	ds_load_b32 v1, v8 offset:7780
	s_wait_dscnt 0x0
	v_xor_b32_e32 v4, 0x80000000, v1
	v_mov_b32_e32 v1, 0
	ds_store_b32 v8, v4 offset:7780
.LBB0_35:
	s_wait_alu 0xfffe
	s_or_b32 exec_lo, exec_lo, s0
	v_mov_b32_e32 v17, 0
	v_lshlrev_b64_e32 v[2:3], 3, v[2:3]
	s_wait_dscnt 0x0
	s_delay_alu instid0(VALU_DEP_2) | instskip(SKIP_1) | instid1(VALU_DEP_1)
	v_lshlrev_b64_e32 v[4:5], 3, v[16:17]
	v_mov_b32_e32 v19, v17
	v_lshlrev_b64_e32 v[18:19], 3, v[18:19]
	s_delay_alu instid0(VALU_DEP_3) | instskip(SKIP_1) | instid1(VALU_DEP_4)
	v_add_co_u32 v4, s0, s8, v4
	s_wait_alu 0xf1ff
	v_add_co_ci_u32_e64 v5, s0, s9, v5, s0
	s_delay_alu instid0(VALU_DEP_3)
	v_add_co_u32 v18, s0, s8, v18
	global_load_b64 v[4:5], v[4:5], off offset:15528
	s_wait_alu 0xf1ff
	v_add_co_ci_u32_e64 v19, s0, s9, v19, s0
	s_add_nc_u64 s[0:1], s[8:9], 0x3ca8
	s_wait_alu 0xfffe
	v_add_co_u32 v2, s0, s0, v2
	global_load_b64 v[18:19], v[18:19], off offset:15528
	s_wait_alu 0xf1ff
	v_add_co_ci_u32_e64 v3, s0, s1, v3, s0
	global_load_b64 v[2:3], v[2:3], off offset:5832
	ds_store_2addr_b32 v29, v7, v8 offset1:1
	ds_store_b64 v6, v[0:1] offset:15552
	ds_load_b64 v[0:1], v31
	ds_load_b64 v[7:8], v6 offset:13608
	s_wait_dscnt 0x0
	v_sub_f32_e32 v9, v0, v7
	v_add_f32_e32 v13, v1, v8
	v_dual_sub_f32 v1, v1, v8 :: v_dual_add_f32 v0, v0, v7
	s_delay_alu instid0(VALU_DEP_3) | instskip(NEXT) | instid1(VALU_DEP_3)
	v_mul_f32_e32 v8, 0.5, v9
	v_mul_f32_e32 v9, 0.5, v13
	s_delay_alu instid0(VALU_DEP_3) | instskip(SKIP_1) | instid1(VALU_DEP_3)
	v_mul_f32_e32 v1, 0.5, v1
	s_wait_loadcnt 0x2
	v_mul_f32_e32 v7, v5, v8
	s_delay_alu instid0(VALU_DEP_2) | instskip(SKIP_1) | instid1(VALU_DEP_3)
	v_fma_f32 v13, v9, v5, v1
	v_fma_f32 v1, v9, v5, -v1
	v_fma_f32 v5, 0.5, v0, v7
	v_fma_f32 v0, v0, 0.5, -v7
	s_delay_alu instid0(VALU_DEP_4) | instskip(NEXT) | instid1(VALU_DEP_4)
	v_fma_f32 v7, -v4, v8, v13
	v_fma_f32 v1, -v4, v8, v1
	s_delay_alu instid0(VALU_DEP_4) | instskip(NEXT) | instid1(VALU_DEP_4)
	v_fmac_f32_e32 v5, v4, v9
	v_fma_f32 v0, -v4, v9, v0
	ds_store_b32 v31, v7 offset:4
	ds_store_b32 v6, v1 offset:13612
	ds_store_b32 v31, v5
	ds_store_b32 v6, v0 offset:13608
	ds_load_b64 v[0:1], v30
	ds_load_b64 v[4:5], v6 offset:11664
	s_wait_dscnt 0x0
	v_dual_sub_f32 v7, v0, v4 :: v_dual_add_f32 v8, v1, v5
	v_dual_sub_f32 v1, v1, v5 :: v_dual_add_f32 v0, v0, v4
	s_delay_alu instid0(VALU_DEP_2) | instskip(NEXT) | instid1(VALU_DEP_3)
	v_mul_f32_e32 v5, 0.5, v7
	v_mul_f32_e32 v7, 0.5, v8
	s_delay_alu instid0(VALU_DEP_3) | instskip(SKIP_1) | instid1(VALU_DEP_3)
	v_mul_f32_e32 v1, 0.5, v1
	s_wait_loadcnt 0x1
	v_mul_f32_e32 v4, v19, v5
	s_delay_alu instid0(VALU_DEP_2) | instskip(SKIP_1) | instid1(VALU_DEP_3)
	v_fma_f32 v8, v7, v19, v1
	v_fma_f32 v1, v7, v19, -v1
	v_fma_f32 v9, 0.5, v0, v4
	v_fma_f32 v0, v0, 0.5, -v4
	s_delay_alu instid0(VALU_DEP_4) | instskip(NEXT) | instid1(VALU_DEP_4)
	v_fma_f32 v4, -v18, v5, v8
	v_fma_f32 v1, -v18, v5, v1
	s_delay_alu instid0(VALU_DEP_4) | instskip(NEXT) | instid1(VALU_DEP_4)
	v_fmac_f32_e32 v9, v18, v7
	v_fma_f32 v0, -v18, v7, v0
	ds_store_2addr_b32 v30, v9, v4 offset1:1
	ds_store_b64 v6, v[0:1] offset:11664
	ds_load_b64 v[0:1], v29 offset:5832
	ds_load_b64 v[4:5], v6 offset:9720
	s_wait_dscnt 0x0
	v_dual_add_f32 v8, v1, v5 :: v_dual_sub_f32 v7, v0, v4
	v_dual_sub_f32 v1, v1, v5 :: v_dual_add_f32 v0, v0, v4
	s_delay_alu instid0(VALU_DEP_2) | instskip(NEXT) | instid1(VALU_DEP_3)
	v_mul_f32_e32 v5, 0.5, v7
	v_mul_f32_e32 v7, 0.5, v8
	s_delay_alu instid0(VALU_DEP_3) | instskip(SKIP_1) | instid1(VALU_DEP_3)
	v_mul_f32_e32 v1, 0.5, v1
	s_wait_loadcnt 0x0
	v_mul_f32_e32 v4, v3, v5
	s_delay_alu instid0(VALU_DEP_2) | instskip(SKIP_1) | instid1(VALU_DEP_3)
	v_fma_f32 v8, v7, v3, v1
	v_fma_f32 v1, v7, v3, -v1
	v_fma_f32 v3, 0.5, v0, v4
	v_fma_f32 v0, v0, 0.5, -v4
	v_add_nc_u32_e32 v4, 0x1400, v29
	v_fma_f32 v8, -v2, v5, v8
	v_fma_f32 v1, -v2, v5, v1
	v_fmac_f32_e32 v3, v2, v7
	v_fma_f32 v0, -v2, v7, v0
	ds_store_2addr_b32 v4, v3, v8 offset0:178 offset1:179
	ds_store_b64 v6, v[0:1] offset:9720
	global_wb scope:SCOPE_SE
	s_wait_dscnt 0x0
	s_barrier_signal -1
	s_barrier_wait -1
	global_inv scope:SCOPE_SE
	s_and_saveexec_b32 s0, vcc_lo
	s_cbranch_execz .LBB0_38
; %bb.36:
	v_mul_lo_u32 v2, s3, v14
	v_mul_lo_u32 v3, s2, v15
	v_mad_co_u64_u32 v[0:1], null, s2, v14, 0
	v_lshl_add_u32 v15, v12, 3, 0
	v_dual_mov_b32 v13, v17 :: v_dual_add_nc_u32 v16, 0xf3, v12
	v_lshlrev_b64_e32 v[10:11], 3, v[10:11]
	s_delay_alu instid0(VALU_DEP_3) | instskip(SKIP_1) | instid1(VALU_DEP_4)
	v_add_nc_u32_e32 v6, 0xf00, v15
	v_add3_u32 v1, v1, v3, v2
	v_lshlrev_b64_e32 v[13:14], 3, v[12:13]
	ds_load_2addr_b64 v[2:5], v15 offset1:243
	v_lshlrev_b64_e32 v[18:19], 3, v[16:17]
	v_add_nc_u32_e32 v16, 0x1e6, v12
	v_lshlrev_b64_e32 v[0:1], 3, v[0:1]
	ds_load_2addr_b64 v[6:9], v6 offset0:6 offset1:249
	v_add_nc_u32_e32 v24, 0x1e00, v15
	v_add_nc_u32_e32 v15, 0x2d80, v15
	v_lshlrev_b64_e32 v[20:21], 3, v[16:17]
	v_add_nc_u32_e32 v16, 0x2d9, v12
	v_add_co_u32 v0, vcc_lo, s6, v0
	s_wait_alu 0xfffd
	v_add_co_ci_u32_e32 v1, vcc_lo, s7, v1, vcc_lo
	s_delay_alu instid0(VALU_DEP_2) | instskip(SKIP_1) | instid1(VALU_DEP_2)
	v_add_co_u32 v0, vcc_lo, v0, v10
	s_wait_alu 0xfffd
	v_add_co_ci_u32_e32 v1, vcc_lo, v1, v11, vcc_lo
	s_delay_alu instid0(VALU_DEP_2) | instskip(SKIP_1) | instid1(VALU_DEP_2)
	v_add_co_u32 v10, vcc_lo, v0, v13
	s_wait_alu 0xfffd
	v_add_co_ci_u32_e32 v11, vcc_lo, v1, v14, vcc_lo
	v_add_co_u32 v13, vcc_lo, v0, v18
	s_wait_alu 0xfffd
	v_add_co_ci_u32_e32 v14, vcc_lo, v1, v19, vcc_lo
	v_lshlrev_b64_e32 v[18:19], 3, v[16:17]
	v_add_nc_u32_e32 v16, 0x3cc, v12
	v_add_co_u32 v20, vcc_lo, v0, v20
	s_wait_alu 0xfffd
	v_add_co_ci_u32_e32 v21, vcc_lo, v1, v21, vcc_lo
	s_delay_alu instid0(VALU_DEP_3)
	v_lshlrev_b64_e32 v[22:23], 3, v[16:17]
	v_add_nc_u32_e32 v16, 0x4bf, v12
	v_add_co_u32 v18, vcc_lo, v0, v18
	s_wait_alu 0xfffd
	v_add_co_ci_u32_e32 v19, vcc_lo, v1, v19, vcc_lo
	s_wait_dscnt 0x1
	s_clause 0x1
	global_store_b64 v[10:11], v[2:3], off
	global_store_b64 v[13:14], v[4:5], off
	s_wait_dscnt 0x0
	s_clause 0x1
	global_store_b64 v[20:21], v[6:7], off
	global_store_b64 v[18:19], v[8:9], off
	v_lshlrev_b64_e32 v[10:11], 3, v[16:17]
	v_add_nc_u32_e32 v16, 0x5b2, v12
	ds_load_2addr_b64 v[2:5], v24 offset0:12 offset1:255
	ds_load_2addr_b64 v[6:9], v15 offset0:2 offset1:245
	v_add_co_u32 v13, vcc_lo, v0, v22
	v_lshlrev_b64_e32 v[18:19], 3, v[16:17]
	v_add_nc_u32_e32 v16, 0x6a5, v12
	s_wait_alu 0xfffd
	v_add_co_ci_u32_e32 v14, vcc_lo, v1, v23, vcc_lo
	v_add_co_u32 v10, vcc_lo, v0, v10
	s_delay_alu instid0(VALU_DEP_3)
	v_lshlrev_b64_e32 v[15:16], 3, v[16:17]
	s_wait_alu 0xfffd
	v_add_co_ci_u32_e32 v11, vcc_lo, v1, v11, vcc_lo
	v_add_co_u32 v17, vcc_lo, v0, v18
	s_wait_alu 0xfffd
	v_add_co_ci_u32_e32 v18, vcc_lo, v1, v19, vcc_lo
	v_add_co_u32 v15, vcc_lo, v0, v15
	s_wait_alu 0xfffd
	v_add_co_ci_u32_e32 v16, vcc_lo, v1, v16, vcc_lo
	v_cmp_eq_u32_e32 vcc_lo, 0xf2, v12
	s_wait_dscnt 0x1
	s_clause 0x1
	global_store_b64 v[13:14], v[2:3], off
	global_store_b64 v[10:11], v[4:5], off
	s_wait_dscnt 0x0
	s_clause 0x1
	global_store_b64 v[17:18], v[6:7], off
	global_store_b64 v[15:16], v[8:9], off
	s_and_b32 exec_lo, exec_lo, vcc_lo
	s_cbranch_execz .LBB0_38
; %bb.37:
	v_mov_b32_e32 v2, 0
	ds_load_b64 v[2:3], v2 offset:15552
	s_wait_dscnt 0x0
	global_store_b64 v[0:1], v[2:3], off offset:15552
.LBB0_38:
	s_nop 0
	s_sendmsg sendmsg(MSG_DEALLOC_VGPRS)
	s_endpgm
	.section	.rodata,"a",@progbits
	.p2align	6, 0x0
	.amdhsa_kernel fft_rtc_fwd_len1944_factors_3_3_3_3_8_3_wgs_243_tpt_243_halfLds_sp_op_CI_CI_unitstride_sbrr_R2C_dirReg
		.amdhsa_group_segment_fixed_size 0
		.amdhsa_private_segment_fixed_size 0
		.amdhsa_kernarg_size 104
		.amdhsa_user_sgpr_count 2
		.amdhsa_user_sgpr_dispatch_ptr 0
		.amdhsa_user_sgpr_queue_ptr 0
		.amdhsa_user_sgpr_kernarg_segment_ptr 1
		.amdhsa_user_sgpr_dispatch_id 0
		.amdhsa_user_sgpr_private_segment_size 0
		.amdhsa_wavefront_size32 1
		.amdhsa_uses_dynamic_stack 0
		.amdhsa_enable_private_segment 0
		.amdhsa_system_sgpr_workgroup_id_x 1
		.amdhsa_system_sgpr_workgroup_id_y 0
		.amdhsa_system_sgpr_workgroup_id_z 0
		.amdhsa_system_sgpr_workgroup_info 0
		.amdhsa_system_vgpr_workitem_id 0
		.amdhsa_next_free_vgpr 54
		.amdhsa_next_free_sgpr 39
		.amdhsa_reserve_vcc 1
		.amdhsa_float_round_mode_32 0
		.amdhsa_float_round_mode_16_64 0
		.amdhsa_float_denorm_mode_32 3
		.amdhsa_float_denorm_mode_16_64 3
		.amdhsa_fp16_overflow 0
		.amdhsa_workgroup_processor_mode 1
		.amdhsa_memory_ordered 1
		.amdhsa_forward_progress 0
		.amdhsa_round_robin_scheduling 0
		.amdhsa_exception_fp_ieee_invalid_op 0
		.amdhsa_exception_fp_denorm_src 0
		.amdhsa_exception_fp_ieee_div_zero 0
		.amdhsa_exception_fp_ieee_overflow 0
		.amdhsa_exception_fp_ieee_underflow 0
		.amdhsa_exception_fp_ieee_inexact 0
		.amdhsa_exception_int_div_zero 0
	.end_amdhsa_kernel
	.text
.Lfunc_end0:
	.size	fft_rtc_fwd_len1944_factors_3_3_3_3_8_3_wgs_243_tpt_243_halfLds_sp_op_CI_CI_unitstride_sbrr_R2C_dirReg, .Lfunc_end0-fft_rtc_fwd_len1944_factors_3_3_3_3_8_3_wgs_243_tpt_243_halfLds_sp_op_CI_CI_unitstride_sbrr_R2C_dirReg
                                        ; -- End function
	.section	.AMDGPU.csdata,"",@progbits
; Kernel info:
; codeLenInByte = 8220
; NumSgprs: 41
; NumVgprs: 54
; ScratchSize: 0
; MemoryBound: 0
; FloatMode: 240
; IeeeMode: 1
; LDSByteSize: 0 bytes/workgroup (compile time only)
; SGPRBlocks: 5
; VGPRBlocks: 6
; NumSGPRsForWavesPerEU: 41
; NumVGPRsForWavesPerEU: 54
; Occupancy: 16
; WaveLimiterHint : 1
; COMPUTE_PGM_RSRC2:SCRATCH_EN: 0
; COMPUTE_PGM_RSRC2:USER_SGPR: 2
; COMPUTE_PGM_RSRC2:TRAP_HANDLER: 0
; COMPUTE_PGM_RSRC2:TGID_X_EN: 1
; COMPUTE_PGM_RSRC2:TGID_Y_EN: 0
; COMPUTE_PGM_RSRC2:TGID_Z_EN: 0
; COMPUTE_PGM_RSRC2:TIDIG_COMP_CNT: 0
	.text
	.p2alignl 7, 3214868480
	.fill 96, 4, 3214868480
	.type	__hip_cuid_6335de89fb4f3d0a,@object ; @__hip_cuid_6335de89fb4f3d0a
	.section	.bss,"aw",@nobits
	.globl	__hip_cuid_6335de89fb4f3d0a
__hip_cuid_6335de89fb4f3d0a:
	.byte	0                               ; 0x0
	.size	__hip_cuid_6335de89fb4f3d0a, 1

	.ident	"AMD clang version 19.0.0git (https://github.com/RadeonOpenCompute/llvm-project roc-6.4.0 25133 c7fe45cf4b819c5991fe208aaa96edf142730f1d)"
	.section	".note.GNU-stack","",@progbits
	.addrsig
	.addrsig_sym __hip_cuid_6335de89fb4f3d0a
	.amdgpu_metadata
---
amdhsa.kernels:
  - .args:
      - .actual_access:  read_only
        .address_space:  global
        .offset:         0
        .size:           8
        .value_kind:     global_buffer
      - .offset:         8
        .size:           8
        .value_kind:     by_value
      - .actual_access:  read_only
        .address_space:  global
        .offset:         16
        .size:           8
        .value_kind:     global_buffer
      - .actual_access:  read_only
        .address_space:  global
        .offset:         24
        .size:           8
        .value_kind:     global_buffer
      - .actual_access:  read_only
        .address_space:  global
        .offset:         32
        .size:           8
        .value_kind:     global_buffer
      - .offset:         40
        .size:           8
        .value_kind:     by_value
      - .actual_access:  read_only
        .address_space:  global
        .offset:         48
        .size:           8
        .value_kind:     global_buffer
      - .actual_access:  read_only
        .address_space:  global
        .offset:         56
        .size:           8
        .value_kind:     global_buffer
      - .offset:         64
        .size:           4
        .value_kind:     by_value
      - .actual_access:  read_only
        .address_space:  global
        .offset:         72
        .size:           8
        .value_kind:     global_buffer
      - .actual_access:  read_only
        .address_space:  global
        .offset:         80
        .size:           8
        .value_kind:     global_buffer
      - .actual_access:  read_only
        .address_space:  global
        .offset:         88
        .size:           8
        .value_kind:     global_buffer
      - .actual_access:  write_only
        .address_space:  global
        .offset:         96
        .size:           8
        .value_kind:     global_buffer
    .group_segment_fixed_size: 0
    .kernarg_segment_align: 8
    .kernarg_segment_size: 104
    .language:       OpenCL C
    .language_version:
      - 2
      - 0
    .max_flat_workgroup_size: 243
    .name:           fft_rtc_fwd_len1944_factors_3_3_3_3_8_3_wgs_243_tpt_243_halfLds_sp_op_CI_CI_unitstride_sbrr_R2C_dirReg
    .private_segment_fixed_size: 0
    .sgpr_count:     41
    .sgpr_spill_count: 0
    .symbol:         fft_rtc_fwd_len1944_factors_3_3_3_3_8_3_wgs_243_tpt_243_halfLds_sp_op_CI_CI_unitstride_sbrr_R2C_dirReg.kd
    .uniform_work_group_size: 1
    .uses_dynamic_stack: false
    .vgpr_count:     54
    .vgpr_spill_count: 0
    .wavefront_size: 32
    .workgroup_processor_mode: 1
amdhsa.target:   amdgcn-amd-amdhsa--gfx1201
amdhsa.version:
  - 1
  - 2
...

	.end_amdgpu_metadata
